;; amdgpu-corpus repo=ROCm/rocFFT kind=compiled arch=gfx906 opt=O3
	.text
	.amdgcn_target "amdgcn-amd-amdhsa--gfx906"
	.amdhsa_code_object_version 6
	.protected	fft_rtc_fwd_len990_factors_2_3_3_5_11_wgs_110_tpt_110_sp_op_CI_CI_sbrr_dirReg ; -- Begin function fft_rtc_fwd_len990_factors_2_3_3_5_11_wgs_110_tpt_110_sp_op_CI_CI_sbrr_dirReg
	.globl	fft_rtc_fwd_len990_factors_2_3_3_5_11_wgs_110_tpt_110_sp_op_CI_CI_sbrr_dirReg
	.p2align	8
	.type	fft_rtc_fwd_len990_factors_2_3_3_5_11_wgs_110_tpt_110_sp_op_CI_CI_sbrr_dirReg,@function
fft_rtc_fwd_len990_factors_2_3_3_5_11_wgs_110_tpt_110_sp_op_CI_CI_sbrr_dirReg: ; @fft_rtc_fwd_len990_factors_2_3_3_5_11_wgs_110_tpt_110_sp_op_CI_CI_sbrr_dirReg
; %bb.0:
	s_load_dwordx4 s[16:19], s[4:5], 0x18
	s_load_dwordx4 s[12:15], s[4:5], 0x0
	;; [unrolled: 1-line block ×3, first 2 shown]
	v_mul_u32_u24_e32 v1, 0x254, v0
	v_add_u32_sdwa v5, s6, v1 dst_sel:DWORD dst_unused:UNUSED_PAD src0_sel:DWORD src1_sel:WORD_1
	s_waitcnt lgkmcnt(0)
	s_load_dwordx2 s[2:3], s[16:17], 0x0
	s_load_dwordx2 s[20:21], s[18:19], 0x0
	v_cmp_lt_u64_e64 s[0:1], s[14:15], 2
	v_mov_b32_e32 v3, 0
	v_mov_b32_e32 v1, 0
	;; [unrolled: 1-line block ×3, first 2 shown]
	s_and_b64 vcc, exec, s[0:1]
	v_mov_b32_e32 v2, 0
	s_cbranch_vccnz .LBB0_8
; %bb.1:
	s_load_dwordx2 s[0:1], s[4:5], 0x10
	s_add_u32 s6, s18, 8
	s_addc_u32 s7, s19, 0
	s_add_u32 s22, s16, 8
	v_mov_b32_e32 v1, 0
	s_addc_u32 s23, s17, 0
	v_mov_b32_e32 v2, 0
	s_waitcnt lgkmcnt(0)
	s_add_u32 s24, s0, 8
	v_mov_b32_e32 v21, v2
	s_addc_u32 s25, s1, 0
	s_mov_b64 s[26:27], 1
	v_mov_b32_e32 v20, v1
.LBB0_2:                                ; =>This Inner Loop Header: Depth=1
	s_load_dwordx2 s[28:29], s[24:25], 0x0
                                        ; implicit-def: $vgpr22_vgpr23
	s_waitcnt lgkmcnt(0)
	v_or_b32_e32 v4, s29, v6
	v_cmp_ne_u64_e32 vcc, 0, v[3:4]
	s_and_saveexec_b64 s[0:1], vcc
	s_xor_b64 s[30:31], exec, s[0:1]
	s_cbranch_execz .LBB0_4
; %bb.3:                                ;   in Loop: Header=BB0_2 Depth=1
	v_cvt_f32_u32_e32 v4, s28
	v_cvt_f32_u32_e32 v7, s29
	s_sub_u32 s0, 0, s28
	s_subb_u32 s1, 0, s29
	v_mac_f32_e32 v4, 0x4f800000, v7
	v_rcp_f32_e32 v4, v4
	v_mul_f32_e32 v4, 0x5f7ffffc, v4
	v_mul_f32_e32 v7, 0x2f800000, v4
	v_trunc_f32_e32 v7, v7
	v_mac_f32_e32 v4, 0xcf800000, v7
	v_cvt_u32_f32_e32 v7, v7
	v_cvt_u32_f32_e32 v4, v4
	v_mul_lo_u32 v8, s0, v7
	v_mul_hi_u32 v9, s0, v4
	v_mul_lo_u32 v11, s1, v4
	v_mul_lo_u32 v10, s0, v4
	v_add_u32_e32 v8, v9, v8
	v_add_u32_e32 v8, v8, v11
	v_mul_hi_u32 v9, v4, v10
	v_mul_lo_u32 v11, v4, v8
	v_mul_hi_u32 v13, v4, v8
	v_mul_hi_u32 v12, v7, v10
	v_mul_lo_u32 v10, v7, v10
	v_mul_hi_u32 v14, v7, v8
	v_add_co_u32_e32 v9, vcc, v9, v11
	v_addc_co_u32_e32 v11, vcc, 0, v13, vcc
	v_mul_lo_u32 v8, v7, v8
	v_add_co_u32_e32 v9, vcc, v9, v10
	v_addc_co_u32_e32 v9, vcc, v11, v12, vcc
	v_addc_co_u32_e32 v10, vcc, 0, v14, vcc
	v_add_co_u32_e32 v8, vcc, v9, v8
	v_addc_co_u32_e32 v9, vcc, 0, v10, vcc
	v_add_co_u32_e32 v4, vcc, v4, v8
	v_addc_co_u32_e32 v7, vcc, v7, v9, vcc
	v_mul_lo_u32 v8, s0, v7
	v_mul_hi_u32 v9, s0, v4
	v_mul_lo_u32 v10, s1, v4
	v_mul_lo_u32 v11, s0, v4
	v_add_u32_e32 v8, v9, v8
	v_add_u32_e32 v8, v8, v10
	v_mul_lo_u32 v12, v4, v8
	v_mul_hi_u32 v13, v4, v11
	v_mul_hi_u32 v14, v4, v8
	;; [unrolled: 1-line block ×3, first 2 shown]
	v_mul_lo_u32 v11, v7, v11
	v_mul_hi_u32 v9, v7, v8
	v_add_co_u32_e32 v12, vcc, v13, v12
	v_addc_co_u32_e32 v13, vcc, 0, v14, vcc
	v_mul_lo_u32 v8, v7, v8
	v_add_co_u32_e32 v11, vcc, v12, v11
	v_addc_co_u32_e32 v10, vcc, v13, v10, vcc
	v_addc_co_u32_e32 v9, vcc, 0, v9, vcc
	v_add_co_u32_e32 v8, vcc, v10, v8
	v_addc_co_u32_e32 v9, vcc, 0, v9, vcc
	v_add_co_u32_e32 v4, vcc, v4, v8
	v_addc_co_u32_e32 v9, vcc, v7, v9, vcc
	v_mad_u64_u32 v[7:8], s[0:1], v5, v9, 0
	v_mul_hi_u32 v10, v5, v4
	v_add_co_u32_e32 v11, vcc, v10, v7
	v_addc_co_u32_e32 v12, vcc, 0, v8, vcc
	v_mad_u64_u32 v[7:8], s[0:1], v6, v4, 0
	v_mad_u64_u32 v[9:10], s[0:1], v6, v9, 0
	v_add_co_u32_e32 v4, vcc, v11, v7
	v_addc_co_u32_e32 v4, vcc, v12, v8, vcc
	v_addc_co_u32_e32 v7, vcc, 0, v10, vcc
	v_add_co_u32_e32 v4, vcc, v4, v9
	v_addc_co_u32_e32 v9, vcc, 0, v7, vcc
	v_mul_lo_u32 v10, s29, v4
	v_mul_lo_u32 v11, s28, v9
	v_mad_u64_u32 v[7:8], s[0:1], s28, v4, 0
	v_add3_u32 v8, v8, v11, v10
	v_sub_u32_e32 v10, v6, v8
	v_mov_b32_e32 v11, s29
	v_sub_co_u32_e32 v7, vcc, v5, v7
	v_subb_co_u32_e64 v10, s[0:1], v10, v11, vcc
	v_subrev_co_u32_e64 v11, s[0:1], s28, v7
	v_subbrev_co_u32_e64 v10, s[0:1], 0, v10, s[0:1]
	v_cmp_le_u32_e64 s[0:1], s29, v10
	v_cndmask_b32_e64 v12, 0, -1, s[0:1]
	v_cmp_le_u32_e64 s[0:1], s28, v11
	v_cndmask_b32_e64 v11, 0, -1, s[0:1]
	v_cmp_eq_u32_e64 s[0:1], s29, v10
	v_cndmask_b32_e64 v10, v12, v11, s[0:1]
	v_add_co_u32_e64 v11, s[0:1], 2, v4
	v_addc_co_u32_e64 v12, s[0:1], 0, v9, s[0:1]
	v_add_co_u32_e64 v13, s[0:1], 1, v4
	v_addc_co_u32_e64 v14, s[0:1], 0, v9, s[0:1]
	v_subb_co_u32_e32 v8, vcc, v6, v8, vcc
	v_cmp_ne_u32_e64 s[0:1], 0, v10
	v_cmp_le_u32_e32 vcc, s29, v8
	v_cndmask_b32_e64 v10, v14, v12, s[0:1]
	v_cndmask_b32_e64 v12, 0, -1, vcc
	v_cmp_le_u32_e32 vcc, s28, v7
	v_cndmask_b32_e64 v7, 0, -1, vcc
	v_cmp_eq_u32_e32 vcc, s29, v8
	v_cndmask_b32_e32 v7, v12, v7, vcc
	v_cmp_ne_u32_e32 vcc, 0, v7
	v_cndmask_b32_e64 v7, v13, v11, s[0:1]
	v_cndmask_b32_e32 v23, v9, v10, vcc
	v_cndmask_b32_e32 v22, v4, v7, vcc
.LBB0_4:                                ;   in Loop: Header=BB0_2 Depth=1
	s_andn2_saveexec_b64 s[0:1], s[30:31]
	s_cbranch_execz .LBB0_6
; %bb.5:                                ;   in Loop: Header=BB0_2 Depth=1
	v_cvt_f32_u32_e32 v4, s28
	s_sub_i32 s30, 0, s28
	v_mov_b32_e32 v23, v3
	v_rcp_iflag_f32_e32 v4, v4
	v_mul_f32_e32 v4, 0x4f7ffffe, v4
	v_cvt_u32_f32_e32 v4, v4
	v_mul_lo_u32 v7, s30, v4
	v_mul_hi_u32 v7, v4, v7
	v_add_u32_e32 v4, v4, v7
	v_mul_hi_u32 v4, v5, v4
	v_mul_lo_u32 v7, v4, s28
	v_add_u32_e32 v8, 1, v4
	v_sub_u32_e32 v7, v5, v7
	v_subrev_u32_e32 v9, s28, v7
	v_cmp_le_u32_e32 vcc, s28, v7
	v_cndmask_b32_e32 v7, v7, v9, vcc
	v_cndmask_b32_e32 v4, v4, v8, vcc
	v_add_u32_e32 v8, 1, v4
	v_cmp_le_u32_e32 vcc, s28, v7
	v_cndmask_b32_e32 v22, v4, v8, vcc
.LBB0_6:                                ;   in Loop: Header=BB0_2 Depth=1
	s_or_b64 exec, exec, s[0:1]
	v_mul_lo_u32 v4, v23, s28
	v_mul_lo_u32 v9, v22, s29
	v_mad_u64_u32 v[7:8], s[0:1], v22, s28, 0
	s_load_dwordx2 s[0:1], s[22:23], 0x0
	s_load_dwordx2 s[28:29], s[6:7], 0x0
	v_add3_u32 v4, v8, v9, v4
	v_sub_co_u32_e32 v5, vcc, v5, v7
	v_subb_co_u32_e32 v4, vcc, v6, v4, vcc
	s_waitcnt lgkmcnt(0)
	v_mul_lo_u32 v6, s0, v4
	v_mul_lo_u32 v7, s1, v5
	v_mad_u64_u32 v[1:2], s[0:1], s0, v5, v[1:2]
	v_mul_lo_u32 v4, s28, v4
	v_mul_lo_u32 v8, s29, v5
	v_mad_u64_u32 v[20:21], s[0:1], s28, v5, v[20:21]
	s_add_u32 s26, s26, 1
	s_addc_u32 s27, s27, 0
	s_add_u32 s6, s6, 8
	v_add3_u32 v21, v8, v21, v4
	s_addc_u32 s7, s7, 0
	v_mov_b32_e32 v4, s14
	s_add_u32 s22, s22, 8
	v_mov_b32_e32 v5, s15
	s_addc_u32 s23, s23, 0
	v_cmp_ge_u64_e32 vcc, s[26:27], v[4:5]
	s_add_u32 s24, s24, 8
	v_add3_u32 v2, v7, v2, v6
	s_addc_u32 s25, s25, 0
	s_cbranch_vccnz .LBB0_9
; %bb.7:                                ;   in Loop: Header=BB0_2 Depth=1
	v_mov_b32_e32 v5, v22
	v_mov_b32_e32 v6, v23
	s_branch .LBB0_2
.LBB0_8:
	v_mov_b32_e32 v21, v2
	v_mov_b32_e32 v23, v6
	;; [unrolled: 1-line block ×4, first 2 shown]
.LBB0_9:
	s_load_dwordx2 s[0:1], s[4:5], 0x28
	s_lshl_b64 s[14:15], s[14:15], 3
	s_add_u32 s4, s18, s14
	s_addc_u32 s5, s19, s15
                                        ; implicit-def: $sgpr18
                                        ; implicit-def: $vgpr26
                                        ; implicit-def: $vgpr27
                                        ; implicit-def: $vgpr28
                                        ; implicit-def: $vgpr30
	s_waitcnt lgkmcnt(0)
	v_cmp_gt_u64_e32 vcc, s[0:1], v[22:23]
	v_cmp_le_u64_e64 s[0:1], s[0:1], v[22:23]
	s_and_saveexec_b64 s[6:7], s[0:1]
	s_xor_b64 s[0:1], exec, s[6:7]
; %bb.10:
	s_mov_b32 s6, 0x253c826
	v_mul_hi_u32 v1, v0, s6
	s_mov_b32 s18, 0
	v_mul_u32_u24_e32 v1, 0x6e, v1
	v_sub_u32_e32 v26, v0, v1
	v_add_u32_e32 v27, 0x6e, v26
	v_add_u32_e32 v28, 0xdc, v26
	;; [unrolled: 1-line block ×3, first 2 shown]
                                        ; implicit-def: $vgpr0
                                        ; implicit-def: $vgpr1_vgpr2
; %bb.11:
	s_or_saveexec_b64 s[6:7], s[0:1]
	s_load_dwordx2 s[4:5], s[4:5], 0x0
	v_mov_b32_e32 v11, s18
	v_mov_b32_e32 v10, s18
                                        ; implicit-def: $vgpr3
                                        ; implicit-def: $vgpr7
                                        ; implicit-def: $vgpr5
                                        ; implicit-def: $vgpr9
                                        ; implicit-def: $vgpr13
                                        ; implicit-def: $vgpr17
                                        ; implicit-def: $vgpr15
                                        ; implicit-def: $vgpr25
                                        ; implicit-def: $vgpr19
	s_xor_b64 exec, exec, s[6:7]
	s_cbranch_execz .LBB0_15
; %bb.12:
	s_add_u32 s0, s16, s14
	s_mov_b32 s14, 0x253c826
	v_mul_hi_u32 v3, v0, s14
	s_addc_u32 s1, s17, s15
	s_load_dwordx2 s[0:1], s[0:1], 0x0
	v_mul_u32_u24_e32 v3, 0x6e, v3
	v_sub_u32_e32 v26, v0, v3
	v_mad_u64_u32 v[3:4], s[14:15], s2, v26, 0
	s_waitcnt lgkmcnt(0)
	v_mul_lo_u32 v9, s1, v22
	v_mul_lo_u32 v10, s0, v23
	v_mad_u64_u32 v[5:6], s[0:1], s0, v22, 0
	v_mov_b32_e32 v0, v4
	v_mad_u64_u32 v[7:8], s[0:1], s3, v26, v[0:1]
	v_add3_u32 v6, v6, v10, v9
	v_lshlrev_b64 v[5:6], 3, v[5:6]
	v_mov_b32_e32 v4, v7
	v_mov_b32_e32 v0, s9
	v_add_co_u32_e64 v7, s[0:1], s8, v5
	v_add_u32_e32 v9, 0x1ef, v26
	v_addc_co_u32_e64 v8, s[0:1], v0, v6, s[0:1]
	v_mad_u64_u32 v[5:6], s[0:1], s2, v9, 0
	v_lshlrev_b64 v[0:1], 3, v[1:2]
	v_lshlrev_b64 v[2:3], 3, v[3:4]
	v_add_co_u32_e64 v0, s[0:1], v7, v0
	v_mov_b32_e32 v4, v6
	v_addc_co_u32_e64 v1, s[0:1], v8, v1, s[0:1]
	v_mad_u64_u32 v[6:7], s[0:1], s3, v9, v[4:5]
	v_add_u32_e32 v27, 0x6e, v26
	v_mad_u64_u32 v[7:8], s[0:1], s2, v27, 0
	v_add_co_u32_e64 v10, s[0:1], v0, v2
	v_mov_b32_e32 v4, v8
	v_addc_co_u32_e64 v11, s[0:1], v1, v3, s[0:1]
	v_lshlrev_b64 v[2:3], 3, v[5:6]
	v_mad_u64_u32 v[4:5], s[0:1], s3, v27, v[4:5]
	v_add_u32_e32 v9, 0x25d, v26
	v_mad_u64_u32 v[5:6], s[0:1], s2, v9, 0
	v_add_co_u32_e64 v12, s[0:1], v0, v2
	v_mov_b32_e32 v8, v4
	v_mov_b32_e32 v4, v6
	v_addc_co_u32_e64 v13, s[0:1], v1, v3, s[0:1]
	v_lshlrev_b64 v[2:3], 3, v[7:8]
	v_mad_u64_u32 v[6:7], s[0:1], s3, v9, v[4:5]
	v_add_u32_e32 v28, 0xdc, v26
	v_mad_u64_u32 v[7:8], s[0:1], s2, v28, 0
	v_add_co_u32_e64 v14, s[0:1], v0, v2
	v_mov_b32_e32 v4, v8
	v_addc_co_u32_e64 v15, s[0:1], v1, v3, s[0:1]
	v_lshlrev_b64 v[2:3], 3, v[5:6]
	v_mad_u64_u32 v[4:5], s[0:1], s3, v28, v[4:5]
	v_add_u32_e32 v9, 0x2cb, v26
	v_mad_u64_u32 v[5:6], s[0:1], s2, v9, 0
	v_add_co_u32_e64 v16, s[0:1], v0, v2
	v_mov_b32_e32 v8, v4
	v_addc_co_u32_e64 v17, s[0:1], v1, v3, s[0:1]
	v_lshlrev_b64 v[2:3], 3, v[7:8]
	v_mov_b32_e32 v4, v6
	v_mad_u64_u32 v[6:7], s[0:1], s3, v9, v[4:5]
	v_add_co_u32_e64 v24, s[0:1], v0, v2
	v_add_u32_e32 v30, 0x14a, v26
	v_addc_co_u32_e64 v25, s[0:1], v1, v3, s[0:1]
	v_mad_u64_u32 v[18:19], s[0:1], s2, v30, 0
	v_lshlrev_b64 v[2:3], 3, v[5:6]
	v_add_u32_e32 v29, 0x339, v26
	v_add_co_u32_e64 v31, s[0:1], v0, v2
	v_mov_b32_e32 v2, v19
	v_addc_co_u32_e64 v32, s[0:1], v1, v3, s[0:1]
	v_mad_u64_u32 v[33:34], s[0:1], s3, v30, v[2:3]
	v_mad_u64_u32 v[34:35], s[0:1], s2, v29, 0
	global_load_dwordx2 v[2:3], v[10:11], off
	global_load_dwordx2 v[6:7], v[12:13], off
	;; [unrolled: 1-line block ×4, first 2 shown]
	v_mov_b32_e32 v19, v33
	v_mov_b32_e32 v12, v35
	v_mad_u64_u32 v[12:13], s[0:1], s3, v29, v[12:13]
	v_lshlrev_b64 v[10:11], 3, v[18:19]
	v_mov_b32_e32 v35, v12
	v_add_co_u32_e64 v10, s[0:1], v0, v10
	v_lshlrev_b64 v[12:13], 3, v[34:35]
	v_addc_co_u32_e64 v11, s[0:1], v1, v11, s[0:1]
	v_add_co_u32_e64 v33, s[0:1], v0, v12
	v_addc_co_u32_e64 v34, s[0:1], v1, v13, s[0:1]
	global_load_dwordx2 v[12:13], v[24:25], off
	global_load_dwordx2 v[16:17], v[31:32], off
	;; [unrolled: 1-line block ×4, first 2 shown]
	v_cmp_gt_u32_e64 s[0:1], 55, v26
	v_mov_b32_e32 v10, 0
	v_mov_b32_e32 v11, 0
                                        ; implicit-def: $vgpr24
	s_and_saveexec_b64 s[8:9], s[0:1]
	s_cbranch_execz .LBB0_14
; %bb.13:
	v_add_u32_e32 v29, 0x1b8, v26
	v_mad_u64_u32 v[10:11], s[0:1], s2, v29, 0
	v_add_u32_e32 v33, 0x3a7, v26
	v_mad_u64_u32 v[24:25], s[0:1], s2, v33, 0
	s_waitcnt vmcnt(3)
	v_mad_u64_u32 v[31:32], s[0:1], s3, v29, v[11:12]
	v_mov_b32_e32 v11, v31
	v_mad_u64_u32 v[31:32], s[0:1], s3, v33, v[25:26]
	v_lshlrev_b64 v[10:11], 3, v[10:11]
	v_add_co_u32_e64 v32, s[0:1], v0, v10
	v_mov_b32_e32 v25, v31
	v_addc_co_u32_e64 v33, s[0:1], v1, v11, s[0:1]
	v_lshlrev_b64 v[10:11], 3, v[24:25]
	v_add_co_u32_e64 v0, s[0:1], v0, v10
	v_addc_co_u32_e64 v1, s[0:1], v1, v11, s[0:1]
	global_load_dwordx2 v[10:11], v[32:33], off
	global_load_dwordx2 v[24:25], v[0:1], off
.LBB0_14:
	s_or_b64 exec, exec, s[8:9]
.LBB0_15:
	s_or_b64 exec, exec, s[6:7]
	s_waitcnt vmcnt(6)
	v_sub_f32_e32 v0, v2, v6
	v_sub_f32_e32 v1, v3, v7
	v_fma_f32 v6, v2, 2.0, -v0
	v_fma_f32 v7, v3, 2.0, -v1
	s_waitcnt vmcnt(4)
	v_sub_f32_e32 v8, v4, v8
	v_sub_f32_e32 v9, v5, v9
	s_waitcnt vmcnt(2)
	v_sub_f32_e32 v16, v12, v16
	v_sub_f32_e32 v17, v13, v17
	;; [unrolled: 3-line block ×3, first 2 shown]
	v_sub_f32_e32 v3, v11, v25
	v_lshl_add_u32 v25, v26, 4, 0
	v_fma_f32 v4, v4, 2.0, -v8
	v_fma_f32 v5, v5, 2.0, -v9
	;; [unrolled: 1-line block ×6, first 2 shown]
	v_sub_f32_e32 v2, v10, v24
	ds_write2_b64 v25, v[6:7], v[0:1] offset1:1
	v_lshl_add_u32 v24, v27, 4, 0
	v_lshl_add_u32 v0, v28, 4, 0
	;; [unrolled: 1-line block ×3, first 2 shown]
	v_cmp_gt_u32_e64 s[0:1], 55, v26
	ds_write2_b64 v24, v[4:5], v[8:9] offset1:1
	ds_write2_b64 v0, v[12:13], v[16:17] offset1:1
	;; [unrolled: 1-line block ×3, first 2 shown]
	s_and_saveexec_b64 s[2:3], s[0:1]
	s_cbranch_execz .LBB0_17
; %bb.16:
	v_add_u32_e32 v6, 0x1b80, v25
	v_fma_f32 v5, v11, 2.0, -v3
	v_fma_f32 v4, v10, 2.0, -v2
	ds_write2_b64 v6, v[4:5], v[2:3] offset1:1
.LBB0_17:
	s_or_b64 exec, exec, s[2:3]
	v_and_b32_e32 v35, 1, v26
	v_lshlrev_b32_e32 v4, 4, v35
	s_waitcnt lgkmcnt(0)
	s_barrier
	global_load_dwordx4 v[4:7], v4, s[12:13]
	v_lshlrev_b32_e32 v29, 3, v26
	v_lshlrev_b32_e32 v8, 3, v30
	;; [unrolled: 1-line block ×4, first 2 shown]
	v_lshrrev_b32_e32 v10, 1, v26
	v_sub_u32_e32 v41, v25, v29
	v_sub_u32_e32 v36, v1, v8
	v_sub_u32_e32 v37, v24, v30
	v_sub_u32_e32 v42, v0, v9
	v_mul_u32_u24_e32 v8, 6, v10
	v_add_u32_e32 v38, 0x1400, v41
	v_add_u32_e32 v43, 0xc00, v41
	ds_read_b64 v[0:1], v37
	ds_read_b64 v[16:17], v36
	ds_read_b64 v[18:19], v41 offset:7040
	ds_read_b64 v[31:32], v41
	v_or_b32_e32 v39, v8, v35
	ds_read_b64 v[33:34], v42
	ds_read2_b64 v[8:11], v38 offset0:20 offset1:130
	ds_read2_b64 v[12:15], v43 offset0:56 offset1:166
	v_lshl_add_u32 v39, v39, 3, 0
	s_waitcnt vmcnt(0) lgkmcnt(0)
	s_barrier
	s_movk_i32 s0, 0xab
	v_mul_f32_e32 v40, v7, v9
	v_mul_f32_e32 v44, v7, v8
	;; [unrolled: 1-line block ×12, first 2 shown]
	v_fma_f32 v7, v6, v8, -v40
	v_fmac_f32_e32 v44, v6, v9
	v_fmac_f32_e32 v15, v5, v14
	v_fma_f32 v5, v4, v16, -v50
	v_fmac_f32_e32 v51, v4, v17
	v_fma_f32 v8, v6, v10, -v45
	;; [unrolled: 2-line block ×4, first 2 shown]
	v_fmac_f32_e32 v53, v6, v19
	v_add_f32_e32 v6, v51, v44
	v_add_f32_e32 v11, v5, v7
	v_fma_f32 v12, v4, v14, -v49
	v_add_f32_e32 v4, v32, v51
	v_add_f32_e32 v10, v31, v5
	;; [unrolled: 1-line block ×3, first 2 shown]
	v_fma_f32 v31, -0.5, v11, v31
	v_fmac_f32_e32 v32, -0.5, v6
	v_sub_f32_e32 v14, v51, v44
	v_sub_f32_e32 v16, v5, v7
	v_add_f32_e32 v45, v9, v8
	v_sub_f32_e32 v47, v9, v8
	v_add_f32_e32 v6, v40, v8
	v_mov_b32_e32 v8, v31
	v_mov_b32_e32 v9, v32
	v_add_f32_e32 v5, v4, v44
	v_add_f32_e32 v4, v10, v7
	v_fmac_f32_e32 v8, 0x3f5db3d7, v14
	v_fmac_f32_e32 v9, 0xbf5db3d7, v16
	ds_write2_b64 v39, v[4:5], v[8:9] offset1:2
	v_add_f32_e32 v4, v12, v13
	v_sub_f32_e32 v17, v48, v46
	v_add_f32_e32 v18, v1, v48
	v_add_f32_e32 v19, v48, v46
	v_add_f32_e32 v48, v33, v12
	v_fma_f32 v33, -0.5, v4, v33
	v_sub_f32_e32 v5, v15, v53
	v_mov_b32_e32 v4, v33
	v_fmac_f32_e32 v4, 0x3f5db3d7, v5
	v_fmac_f32_e32 v33, 0xbf5db3d7, v5
	v_add_f32_e32 v5, v34, v15
	v_add_f32_e32 v9, v5, v53
	;; [unrolled: 1-line block ×3, first 2 shown]
	v_fmac_f32_e32 v34, -0.5, v5
	v_lshrrev_b32_e32 v5, 1, v27
	v_add_f32_e32 v8, v48, v13
	v_sub_f32_e32 v12, v12, v13
	v_mul_lo_u32 v13, v5, 6
	v_mov_b32_e32 v5, v34
	v_fmac_f32_e32 v5, 0xbf5db3d7, v12
	v_fmac_f32_e32 v34, 0x3f5db3d7, v12
	v_or_b32_e32 v12, v13, v35
	v_lshrrev_b32_e32 v13, 1, v28
	v_mul_lo_u32 v13, v13, 6
	v_fma_f32 v0, -0.5, v45, v0
	v_fmac_f32_e32 v1, -0.5, v19
	v_mov_b32_e32 v10, v0
	v_mov_b32_e32 v11, v1
	v_add_f32_e32 v7, v18, v46
	v_fmac_f32_e32 v31, 0xbf5db3d7, v14
	v_fmac_f32_e32 v32, 0x3f5db3d7, v16
	;; [unrolled: 1-line block ×5, first 2 shown]
	v_lshl_add_u32 v12, v12, 3, 0
	v_fmac_f32_e32 v1, 0x3f5db3d7, v47
	ds_write_b64 v39, v[31:32] offset:32
	ds_write2_b64 v12, v[6:7], v[10:11] offset1:2
	ds_write_b64 v12, v[0:1] offset:32
	v_or_b32_e32 v0, v13, v35
	v_lshl_add_u32 v0, v0, 3, 0
	ds_write2_b64 v0, v[8:9], v[4:5] offset1:2
	ds_write_b64 v0, v[33:34] offset:32
	v_mul_lo_u16_sdwa v0, v26, s0 dst_sel:DWORD dst_unused:UNUSED_PAD src0_sel:BYTE_0 src1_sel:DWORD
	v_mul_lo_u16_sdwa v4, v27, s0 dst_sel:DWORD dst_unused:UNUSED_PAD src0_sel:BYTE_0 src1_sel:DWORD
	v_lshrrev_b16_e32 v44, 10, v0
	v_lshrrev_b16_e32 v46, 10, v4
	v_mul_lo_u16_e32 v0, 6, v44
	v_mul_lo_u16_e32 v4, 6, v46
	v_sub_u16_e32 v45, v26, v0
	v_mov_b32_e32 v0, 4
	v_sub_u16_e32 v47, v27, v4
	v_lshlrev_b32_sdwa v1, v0, v45 dst_sel:DWORD dst_unused:UNUSED_PAD src0_sel:DWORD src1_sel:BYTE_0
	v_lshlrev_b32_sdwa v0, v0, v47 dst_sel:DWORD dst_unused:UNUSED_PAD src0_sel:DWORD src1_sel:BYTE_0
	s_mov_b32 s0, 0xaaab
	s_waitcnt lgkmcnt(0)
	s_barrier
	global_load_dwordx4 v[6:9], v1, s[12:13] offset:32
	global_load_dwordx4 v[10:13], v0, s[12:13] offset:32
	v_mul_u32_u24_sdwa v0, v28, s0 dst_sel:DWORD dst_unused:UNUSED_PAD src0_sel:WORD_0 src1_sel:DWORD
	v_lshrrev_b32_e32 v48, 18, v0
	v_mul_lo_u16_e32 v0, 6, v48
	v_sub_u16_e32 v28, v28, v0
	v_lshlrev_b32_e32 v0, 4, v28
	global_load_dwordx4 v[14:17], v0, s[12:13] offset:32
	ds_read_b64 v[4:5], v37
	ds_read_b64 v[0:1], v36
	ds_read2_b64 v[31:34], v38 offset0:20 offset1:130
	ds_read2_b64 v[35:38], v43 offset0:56 offset1:166
	ds_read_b64 v[18:19], v41 offset:7040
	ds_read_b64 v[39:40], v41
	s_movk_i32 s0, 0x58
	v_cmp_gt_u32_e64 s[0:1], s0, v26
	s_waitcnt vmcnt(2) lgkmcnt(4)
	v_mul_f32_e32 v49, v7, v1
	v_mul_f32_e32 v50, v7, v0
	s_waitcnt lgkmcnt(3)
	v_mul_f32_e32 v7, v9, v32
	v_mul_f32_e32 v9, v9, v31
	v_fma_f32 v49, v6, v0, -v49
	v_fma_f32 v31, v8, v31, -v7
	s_waitcnt vmcnt(1)
	v_mul_f32_e32 v51, v13, v34
	s_waitcnt vmcnt(0) lgkmcnt(2)
	v_mul_f32_e32 v53, v15, v38
	v_mul_f32_e32 v15, v15, v37
	s_waitcnt lgkmcnt(1)
	v_mul_f32_e32 v54, v19, v17
	v_mul_f32_e32 v17, v18, v17
	v_fmac_f32_e32 v50, v6, v1
	v_fmac_f32_e32 v9, v8, v32
	s_waitcnt lgkmcnt(0)
	v_add_f32_e32 v6, v39, v49
	v_add_f32_e32 v7, v49, v31
	v_mul_f32_e32 v13, v13, v33
	v_mul_f32_e32 v52, v11, v36
	;; [unrolled: 1-line block ×3, first 2 shown]
	v_fma_f32 v32, v12, v33, -v51
	v_fma_f32 v33, v14, v37, -v53
	v_fmac_f32_e32 v15, v14, v38
	v_fma_f32 v14, v18, v16, -v54
	v_fmac_f32_e32 v17, v19, v16
	v_fma_f32 v39, -0.5, v7, v39
	v_add_f32_e32 v6, v6, v31
	v_add_f32_e32 v7, v40, v50
	;; [unrolled: 1-line block ×3, first 2 shown]
	v_sub_f32_e32 v16, v49, v31
	v_mov_b32_e32 v31, 3
	v_fmac_f32_e32 v13, v12, v34
	v_fma_f32 v12, v10, v35, -v52
	v_fmac_f32_e32 v11, v10, v36
	v_add_f32_e32 v7, v7, v9
	v_sub_f32_e32 v10, v50, v9
	v_fmac_f32_e32 v40, -0.5, v8
	v_mul_u32_u24_e32 v8, 0x90, v44
	v_lshlrev_b32_sdwa v9, v31, v45 dst_sel:DWORD dst_unused:UNUSED_PAD src0_sel:DWORD src1_sel:BYTE_0
	v_add3_u32 v18, 0, v8, v9
	v_mov_b32_e32 v8, v39
	v_mov_b32_e32 v9, v40
	v_fmac_f32_e32 v8, 0x3f5db3d7, v10
	v_fmac_f32_e32 v9, 0xbf5db3d7, v16
	ds_read_b64 v[0:1], v42
	s_waitcnt lgkmcnt(0)
	s_barrier
	ds_write2_b64 v18, v[6:7], v[8:9] offset1:6
	v_add_f32_e32 v6, v12, v32
	v_add_f32_e32 v7, v4, v12
	v_fma_f32 v4, -0.5, v6, v4
	v_sub_f32_e32 v8, v11, v13
	v_mov_b32_e32 v6, v4
	v_fmac_f32_e32 v6, 0x3f5db3d7, v8
	v_fmac_f32_e32 v4, 0xbf5db3d7, v8
	v_add_f32_e32 v8, v7, v32
	v_add_f32_e32 v7, v5, v11
	v_add_f32_e32 v9, v7, v13
	v_add_f32_e32 v7, v11, v13
	v_fmac_f32_e32 v5, -0.5, v7
	v_fmac_f32_e32 v39, 0xbf5db3d7, v10
	v_sub_f32_e32 v10, v12, v32
	v_mov_b32_e32 v7, v5
	v_add_f32_e32 v11, v33, v14
	v_fmac_f32_e32 v7, 0xbf5db3d7, v10
	v_fmac_f32_e32 v5, 0x3f5db3d7, v10
	v_add_f32_e32 v10, v0, v33
	v_fma_f32 v0, -0.5, v11, v0
	v_mov_b32_e32 v12, v0
	v_sub_f32_e32 v11, v15, v17
	v_add_f32_e32 v13, v15, v17
	v_fmac_f32_e32 v12, 0x3f5db3d7, v11
	v_fmac_f32_e32 v0, 0xbf5db3d7, v11
	v_add_f32_e32 v11, v1, v15
	v_fmac_f32_e32 v1, -0.5, v13
	v_add_f32_e32 v10, v10, v14
	v_sub_f32_e32 v14, v33, v14
	v_mov_b32_e32 v13, v1
	v_fmac_f32_e32 v13, 0xbf5db3d7, v14
	v_fmac_f32_e32 v1, 0x3f5db3d7, v14
	v_mul_u32_u24_e32 v14, 0x90, v46
	v_lshlrev_b32_sdwa v15, v31, v47 dst_sel:DWORD dst_unused:UNUSED_PAD src0_sel:DWORD src1_sel:BYTE_0
	v_fmac_f32_e32 v40, 0x3f5db3d7, v16
	v_add3_u32 v14, 0, v14, v15
	ds_write_b64 v18, v[39:40] offset:96
	ds_write2_b64 v14, v[8:9], v[6:7] offset1:6
	ds_write_b64 v14, v[4:5] offset:96
	v_mul_u32_u24_e32 v6, 0x90, v48
	v_lshlrev_b32_e32 v7, 3, v28
	v_add_f32_e32 v11, v11, v17
	v_add3_u32 v6, 0, v6, v7
	ds_write2_b64 v6, v[10:11], v[12:13] offset1:6
	ds_write_b64 v6, v[0:1] offset:96
	s_waitcnt lgkmcnt(0)
	s_barrier
	ds_read2_b64 v[6:9], v41 offset1:198
	ds_read2_b64 v[14:17], v43 offset0:12 offset1:210
	ds_read_b64 v[18:19], v41 offset:6336
	v_sub_u32_e32 v28, 0, v29
	v_add_u32_e32 v28, v25, v28
	s_and_saveexec_b64 s[2:3], s[0:1]
	s_cbranch_execz .LBB0_19
; %bb.18:
	v_sub_u32_e32 v0, 0, v30
	v_add_u32_e32 v0, v24, v0
	ds_read_b64 v[4:5], v0
	v_add_u32_e32 v0, 0x800, v28
	ds_read2_b64 v[10:13], v0 offset0:52 offset1:250
	v_add_u32_e32 v0, 0x1600, v28
	ds_read2_b64 v[0:3], v0 offset1:198
.LBB0_19:
	s_or_b64 exec, exec, s[2:3]
	v_mov_b32_e32 v29, 57
	v_mul_lo_u16_sdwa v24, v27, v29 dst_sel:DWORD dst_unused:UNUSED_PAD src0_sel:BYTE_0 src1_sel:DWORD
	v_lshrrev_b16_e32 v24, 10, v24
	v_mul_lo_u16_sdwa v29, v26, v29 dst_sel:DWORD dst_unused:UNUSED_PAD src0_sel:BYTE_0 src1_sel:DWORD
	v_mul_lo_u16_e32 v25, 18, v24
	v_lshrrev_b16_e32 v29, 10, v29
	v_mov_b32_e32 v30, 5
	v_sub_u16_e32 v25, v27, v25
	v_mul_lo_u16_e32 v36, 18, v29
	v_lshlrev_b32_sdwa v27, v30, v25 dst_sel:DWORD dst_unused:UNUSED_PAD src0_sel:DWORD src1_sel:BYTE_0
	v_sub_u16_e32 v48, v26, v36
	global_load_dwordx4 v[32:35], v27, s[12:13] offset:128
	v_lshlrev_b32_sdwa v30, v30, v48 dst_sel:DWORD dst_unused:UNUSED_PAD src0_sel:DWORD src1_sel:BYTE_0
	global_load_dwordx4 v[36:39], v30, s[12:13] offset:128
	global_load_dwordx4 v[40:43], v30, s[12:13] offset:144
	;; [unrolled: 1-line block ×3, first 2 shown]
	s_waitcnt vmcnt(0) lgkmcnt(0)
	s_barrier
	v_mul_f32_e32 v49, v37, v9
	v_mul_f32_e32 v27, v11, v33
	;; [unrolled: 1-line block ×9, first 2 shown]
	v_fma_f32 v27, v10, v32, -v27
	v_fmac_f32_e32 v30, v11, v32
	v_fma_f32 v8, v36, v8, -v49
	v_fmac_f32_e32 v37, v36, v9
	v_fma_f32 v9, v38, v14, -v50
	v_fma_f32 v10, v40, v16, -v51
	;; [unrolled: 1-line block ×3, first 2 shown]
	v_mul_f32_e32 v35, v12, v35
	v_mul_f32_e32 v41, v41, v16
	v_fma_f32 v32, v12, v34, -v33
	v_fmac_f32_e32 v39, v38, v15
	v_add_f32_e32 v12, v8, v11
	v_sub_f32_e32 v14, v9, v8
	v_sub_f32_e32 v15, v10, v11
	v_mul_f32_e32 v43, v43, v18
	v_fmac_f32_e32 v41, v40, v17
	v_add_f32_e32 v15, v14, v15
	v_fma_f32 v14, -0.5, v12, v6
	v_mul_f32_e32 v53, v1, v45
	v_mul_f32_e32 v45, v0, v45
	v_fmac_f32_e32 v43, v42, v19
	v_sub_f32_e32 v40, v39, v41
	v_mov_b32_e32 v12, v14
	v_mul_f32_e32 v54, v3, v47
	v_mul_f32_e32 v47, v2, v47
	v_fmac_f32_e32 v35, v13, v34
	v_fmac_f32_e32 v45, v1, v44
	v_add_f32_e32 v1, v9, v10
	v_sub_f32_e32 v13, v37, v43
	v_fmac_f32_e32 v14, 0x3f737871, v40
	v_fmac_f32_e32 v12, 0xbf737871, v40
	v_fma_f32 v19, v0, v44, -v53
	v_fma_f32 v17, v2, v46, -v54
	v_fmac_f32_e32 v47, v3, v46
	v_add_f32_e32 v0, v6, v8
	v_sub_f32_e32 v2, v8, v9
	v_sub_f32_e32 v3, v11, v10
	;; [unrolled: 1-line block ×3, first 2 shown]
	v_fma_f32 v8, -0.5, v1, v6
	v_fmac_f32_e32 v14, 0xbf167918, v13
	v_fmac_f32_e32 v12, 0x3f167918, v13
	v_add_f32_e32 v6, v37, v43
	v_add_f32_e32 v42, v2, v3
	v_mov_b32_e32 v2, v8
	v_fmac_f32_e32 v14, 0x3e9e377a, v15
	v_fmac_f32_e32 v12, 0x3e9e377a, v15
	v_fma_f32 v15, -0.5, v6, v7
	v_add_f32_e32 v18, v39, v41
	v_sub_f32_e32 v34, v9, v10
	v_fmac_f32_e32 v8, 0xbf737871, v13
	v_fmac_f32_e32 v2, 0x3f737871, v13
	v_mov_b32_e32 v13, v15
	v_add_f32_e32 v16, v7, v37
	v_add_f32_e32 v0, v0, v9
	v_fma_f32 v9, -0.5, v18, v7
	v_fmac_f32_e32 v13, 0x3f737871, v34
	v_sub_f32_e32 v6, v39, v37
	v_sub_f32_e32 v7, v41, v43
	v_fmac_f32_e32 v15, 0xbf737871, v34
	v_fmac_f32_e32 v13, 0xbf167918, v33
	v_add_f32_e32 v6, v6, v7
	v_fmac_f32_e32 v15, 0x3f167918, v33
	v_fmac_f32_e32 v13, 0x3e9e377a, v6
	;; [unrolled: 1-line block ×3, first 2 shown]
	v_add_f32_e32 v6, v4, v27
	v_add_f32_e32 v6, v6, v32
	v_mov_b32_e32 v3, v9
	v_add_f32_e32 v6, v6, v19
	v_sub_f32_e32 v36, v37, v39
	v_sub_f32_e32 v38, v43, v41
	v_add_f32_e32 v0, v0, v10
	v_fmac_f32_e32 v9, 0x3f737871, v33
	v_fmac_f32_e32 v3, 0xbf737871, v33
	v_add_f32_e32 v10, v6, v17
	v_add_f32_e32 v6, v32, v19
	;; [unrolled: 1-line block ×4, first 2 shown]
	v_fmac_f32_e32 v3, 0xbf167918, v34
	v_fmac_f32_e32 v9, 0x3f167918, v34
	v_fma_f32 v6, -0.5, v6, v4
	v_fmac_f32_e32 v3, 0x3e9e377a, v16
	v_fmac_f32_e32 v9, 0x3e9e377a, v16
	v_sub_f32_e32 v7, v30, v47
	v_mov_b32_e32 v16, v6
	v_add_f32_e32 v0, v0, v11
	v_fmac_f32_e32 v16, 0x3f737871, v7
	v_sub_f32_e32 v11, v35, v45
	v_sub_f32_e32 v18, v27, v32
	;; [unrolled: 1-line block ×3, first 2 shown]
	v_fmac_f32_e32 v6, 0xbf737871, v7
	v_fmac_f32_e32 v16, 0x3f167918, v11
	v_add_f32_e32 v18, v18, v33
	v_fmac_f32_e32 v6, 0xbf167918, v11
	v_fmac_f32_e32 v16, 0x3e9e377a, v18
	v_fmac_f32_e32 v6, 0x3e9e377a, v18
	v_add_f32_e32 v18, v27, v17
	v_fmac_f32_e32 v4, -0.5, v18
	v_mov_b32_e32 v18, v4
	v_fmac_f32_e32 v18, 0xbf737871, v11
	v_fmac_f32_e32 v4, 0x3f737871, v11
	v_fmac_f32_e32 v18, 0x3f167918, v7
	v_fmac_f32_e32 v4, 0xbf167918, v7
	v_add_f32_e32 v7, v5, v30
	v_add_f32_e32 v7, v7, v35
	;; [unrolled: 1-line block ×5, first 2 shown]
	v_sub_f32_e32 v33, v32, v27
	v_sub_f32_e32 v34, v19, v17
	v_fma_f32 v7, -0.5, v7, v5
	v_add_f32_e32 v33, v33, v34
	v_sub_f32_e32 v27, v27, v17
	v_mov_b32_e32 v17, v7
	v_fmac_f32_e32 v18, 0x3e9e377a, v33
	v_fmac_f32_e32 v4, 0x3e9e377a, v33
	;; [unrolled: 1-line block ×3, first 2 shown]
	v_sub_f32_e32 v32, v32, v19
	v_sub_f32_e32 v19, v30, v35
	v_sub_f32_e32 v33, v47, v45
	v_fmac_f32_e32 v7, 0x3f737871, v27
	v_fmac_f32_e32 v17, 0xbf167918, v32
	v_add_f32_e32 v19, v19, v33
	v_fmac_f32_e32 v7, 0x3f167918, v32
	v_fmac_f32_e32 v17, 0x3e9e377a, v19
	;; [unrolled: 1-line block ×3, first 2 shown]
	v_add_f32_e32 v19, v30, v47
	v_fmac_f32_e32 v5, -0.5, v19
	v_mov_b32_e32 v19, v5
	v_fmac_f32_e32 v19, 0x3f737871, v32
	v_sub_f32_e32 v30, v35, v30
	v_sub_f32_e32 v33, v45, v47
	v_fmac_f32_e32 v5, 0xbf737871, v32
	v_add_f32_e32 v1, v1, v41
	v_fmac_f32_e32 v8, 0xbf167918, v40
	v_fmac_f32_e32 v2, 0x3f167918, v40
	;; [unrolled: 1-line block ×3, first 2 shown]
	v_add_f32_e32 v30, v30, v33
	v_fmac_f32_e32 v5, 0x3f167918, v27
	v_mul_u32_u24_e32 v27, 0x2d0, v29
	v_lshlrev_b32_sdwa v29, v31, v48 dst_sel:DWORD dst_unused:UNUSED_PAD src0_sel:DWORD src1_sel:BYTE_0
	v_add_f32_e32 v1, v1, v43
	v_fmac_f32_e32 v8, 0x3e9e377a, v42
	v_fmac_f32_e32 v2, 0x3e9e377a, v42
	;; [unrolled: 1-line block ×4, first 2 shown]
	v_add3_u32 v27, 0, v27, v29
	ds_write2_b64 v27, v[0:1], v[2:3] offset1:18
	ds_write2_b64 v27, v[12:13], v[14:15] offset0:36 offset1:54
	ds_write_b64 v27, v[8:9] offset:576
	s_and_saveexec_b64 s[2:3], s[0:1]
	s_cbranch_execz .LBB0_21
; %bb.20:
	v_mov_b32_e32 v27, 3
	v_mul_u32_u24_e32 v24, 0x2d0, v24
	v_lshlrev_b32_sdwa v25, v27, v25 dst_sel:DWORD dst_unused:UNUSED_PAD src0_sel:DWORD src1_sel:BYTE_0
	v_add3_u32 v24, 0, v24, v25
	ds_write2_b64 v24, v[10:11], v[16:17] offset1:18
	ds_write2_b64 v24, v[18:19], v[4:5] offset0:36 offset1:54
	ds_write_b64 v24, v[6:7] offset:576
.LBB0_21:
	s_or_b64 exec, exec, s[2:3]
	s_movk_i32 s6, 0x5a
	v_cmp_gt_u32_e64 s[0:1], s6, v26
	s_waitcnt lgkmcnt(0)
	s_barrier
	s_waitcnt lgkmcnt(0)
                                        ; implicit-def: $vgpr25
	s_and_saveexec_b64 s[2:3], s[0:1]
	s_cbranch_execz .LBB0_23
; %bb.22:
	v_add_u32_e32 v4, 0x400, v28
	ds_read2_b64 v[12:15], v4 offset0:52 offset1:142
	v_add_u32_e32 v4, 0x800, v28
	ds_read2_b64 v[8:11], v4 offset0:104 offset1:194
	;; [unrolled: 2-line block ×3, first 2 shown]
	v_add_u32_e32 v4, 0x1400, v28
	ds_read2_b64 v[0:3], v28 offset1:90
	ds_read2_b64 v[4:7], v4 offset0:80 offset1:170
	ds_read_b64 v[24:25], v28 offset:7200
.LBB0_23:
	s_or_b64 exec, exec, s[2:3]
	v_cmp_gt_u32_e64 s[2:3], s6, v26
	s_and_b64 s[2:3], vcc, s[2:3]
	s_and_saveexec_b64 s[6:7], s[2:3]
	s_cbranch_execz .LBB0_25
; %bb.24:
	v_add_u32_e32 v27, 0xffffffa6, v26
	v_cndmask_b32_e64 v27, v27, v26, s[0:1]
	v_mul_i32_i24_e32 v27, 10, v27
	v_mov_b32_e32 v28, 0
	v_lshlrev_b64 v[27:28], 3, v[27:28]
	v_mov_b32_e32 v29, s13
	v_add_co_u32_e32 v47, vcc, s12, v27
	v_addc_co_u32_e32 v48, vcc, v29, v28, vcc
	global_load_dwordx4 v[27:30], v[47:48], off offset:704
	global_load_dwordx4 v[31:34], v[47:48], off offset:768
	;; [unrolled: 1-line block ×5, first 2 shown]
	v_mul_lo_u32 v47, s5, v22
	v_mul_lo_u32 v48, s4, v23
	v_mad_u64_u32 v[22:23], s[0:1], s4, v22, 0
	s_mov_b32 s0, 0xbf75a155
	s_mov_b32 s1, 0x3f575c64
	v_add3_u32 v23, v23, v48, v47
	s_mov_b32 s2, 0xbf27a4f4
	s_mov_b32 s4, 0x3ed4b147
	;; [unrolled: 1-line block ×3, first 2 shown]
	v_lshlrev_b64 v[22:23], 3, v[22:23]
	v_lshlrev_b64 v[20:21], 3, v[20:21]
	v_add_co_u32_e32 v22, vcc, s10, v22
	s_waitcnt vmcnt(4) lgkmcnt(2)
	v_mul_f32_e32 v47, v3, v27
	s_waitcnt vmcnt(3) lgkmcnt(0)
	v_mul_f32_e32 v49, v25, v33
	v_mul_f32_e32 v48, v13, v29
	;; [unrolled: 1-line block ×3, first 2 shown]
	s_waitcnt vmcnt(0)
	v_mul_f32_e32 v55, v17, v45
	v_mul_f32_e32 v17, v17, v46
	v_fmac_f32_e32 v47, v2, v28
	v_fmac_f32_e32 v49, v24, v34
	v_mul_f32_e32 v3, v3, v28
	v_mul_f32_e32 v13, v13, v30
	;; [unrolled: 1-line block ×9, first 2 shown]
	v_fmac_f32_e32 v48, v12, v30
	v_fmac_f32_e32 v50, v6, v32
	;; [unrolled: 1-line block ×3, first 2 shown]
	v_fma_f32 v16, v16, v45, -v17
	v_add_f32_e32 v32, v49, v47
	v_sub_f32_e32 v17, v47, v49
	v_mul_f32_e32 v15, v15, v36
	v_mul_f32_e32 v52, v5, v41
	;; [unrolled: 1-line block ×3, first 2 shown]
	v_fma_f32 v27, v2, v27, -v3
	v_fma_f32 v28, v12, v29, -v13
	v_fma_f32 v24, v24, v33, -v25
	v_fmac_f32_e32 v51, v14, v36
	v_fmac_f32_e32 v53, v18, v40
	v_fma_f32 v18, v18, v39, -v19
	v_fmac_f32_e32 v56, v10, v44
	v_fma_f32 v19, v10, v43, -v11
	v_add_f32_e32 v33, v50, v48
	v_sub_f32_e32 v36, v48, v50
	v_mul_f32_e32 v10, 0xbe11bafb, v32
	v_mul_f32_e32 v12, 0xbf7d64f0, v17
	v_fma_f32 v25, v6, v31, -v7
	v_fma_f32 v29, v14, v35, -v15
	v_fmac_f32_e32 v52, v4, v42
	v_fma_f32 v30, v4, v41, -v5
	v_sub_f32_e32 v14, v27, v24
	v_add_f32_e32 v34, v24, v27
	v_mul_f32_e32 v11, 0xbf75a155, v33
	v_mul_f32_e32 v13, 0x3e903f40, v36
	v_mov_b32_e32 v2, v10
	v_mov_b32_e32 v4, v12
	v_mul_f32_e32 v54, v9, v37
	v_sub_f32_e32 v15, v28, v25
	v_add_f32_e32 v35, v25, v28
	v_mov_b32_e32 v3, v11
	v_mov_b32_e32 v5, v13
	v_fmac_f32_e32 v2, 0x3f7d64f0, v14
	v_fmac_f32_e32 v4, 0xbe11bafb, v34
	v_sub_f32_e32 v44, v51, v52
	v_mul_f32_e32 v9, v9, v38
	v_fmac_f32_e32 v54, v8, v38
	v_fmac_f32_e32 v3, 0xbe903f40, v15
	;; [unrolled: 1-line block ×3, first 2 shown]
	v_add_f32_e32 v2, v1, v2
	v_add_f32_e32 v4, v0, v4
	v_mul_f32_e32 v45, 0x3f68dda4, v44
	v_fma_f32 v31, v8, v37, -v9
	v_add_f32_e32 v37, v52, v51
	v_add_f32_e32 v41, v30, v29
	v_add_f32_e32 v2, v2, v3
	v_add_f32_e32 v3, v4, v5
	v_mov_b32_e32 v4, v45
	v_sub_f32_e32 v57, v54, v53
	v_add_f32_e32 v39, v53, v54
	v_mul_f32_e32 v42, 0x3ed4b147, v37
	v_fmac_f32_e32 v4, 0x3ed4b147, v41
	v_mul_f32_e32 v58, 0xbf0a6770, v57
	v_sub_f32_e32 v38, v29, v30
	v_mul_f32_e32 v43, 0x3f575c64, v39
	v_mov_b32_e32 v6, v42
	v_add_f32_e32 v3, v3, v4
	v_add_f32_e32 v46, v18, v31
	v_mov_b32_e32 v4, v58
	v_add_f32_e32 v59, v55, v56
	v_sub_f32_e32 v40, v31, v18
	v_mov_b32_e32 v7, v43
	v_fmac_f32_e32 v6, 0xbf68dda4, v38
	v_fmac_f32_e32 v4, 0x3f575c64, v46
	v_mul_f32_e32 v60, 0xbf27a4f4, v59
	v_fmac_f32_e32 v7, 0x3f0a6770, v40
	v_add_f32_e32 v2, v2, v6
	v_add_f32_e32 v4, v3, v4
	v_sub_f32_e32 v61, v19, v16
	v_mov_b32_e32 v3, v60
	v_sub_f32_e32 v63, v56, v55
	v_add_f32_e32 v2, v2, v7
	v_fmac_f32_e32 v3, 0x3f4178ce, v61
	v_mul_f32_e32 v64, 0xbf4178ce, v63
	v_add_f32_e32 v3, v2, v3
	v_add_f32_e32 v62, v16, v19
	v_mov_b32_e32 v2, v64
	v_fmac_f32_e32 v2, 0xbf27a4f4, v62
	v_mul_f32_e32 v6, 0xbf75a155, v32
	v_add_f32_e32 v2, v4, v2
	v_mov_b32_e32 v4, v6
	v_mul_f32_e32 v7, 0x3f575c64, v33
	v_fmac_f32_e32 v4, 0x3e903f40, v14
	v_mov_b32_e32 v5, v7
	v_add_f32_e32 v4, v1, v4
	v_fmac_f32_e32 v5, 0xbf0a6770, v15
	v_mul_f32_e32 v8, 0xbf27a4f4, v37
	v_add_f32_e32 v4, v4, v5
	v_mov_b32_e32 v5, v8
	v_fmac_f32_e32 v5, 0x3f4178ce, v38
	v_mul_f32_e32 v9, 0x3ed4b147, v39
	v_add_f32_e32 v4, v4, v5
	v_mov_b32_e32 v5, v9
	;; [unrolled: 4-line block ×3, first 2 shown]
	v_mul_f32_e32 v66, 0x3f0a6770, v36
	v_fmac_f32_e32 v5, 0xbf75a155, v34
	v_mov_b32_e32 v67, v66
	v_add_f32_e32 v5, v0, v5
	v_fmac_f32_e32 v67, 0x3f575c64, v35
	v_add_f32_e32 v5, v5, v67
	v_mul_f32_e32 v67, 0xbf4178ce, v44
	v_mov_b32_e32 v68, v67
	v_fmac_f32_e32 v6, 0xbe903f40, v14
	v_fmac_f32_e32 v68, 0xbf27a4f4, v41
	v_add_f32_e32 v6, v1, v6
	v_fmac_f32_e32 v7, 0x3f0a6770, v15
	v_add_f32_e32 v5, v5, v68
	v_mul_f32_e32 v68, 0x3f68dda4, v57
	v_add_f32_e32 v6, v6, v7
	v_fmac_f32_e32 v8, 0xbf4178ce, v38
	v_fma_f32 v7, v34, s0, -v65
	v_mov_b32_e32 v69, v68
	v_add_f32_e32 v6, v6, v8
	v_add_f32_e32 v7, v0, v7
	v_fma_f32 v8, v35, s1, -v66
	v_fmac_f32_e32 v69, 0x3ed4b147, v46
	v_mul_f32_e32 v70, 0xbe11bafb, v59
	v_fmac_f32_e32 v9, 0x3f68dda4, v40
	v_add_f32_e32 v7, v7, v8
	v_fma_f32 v8, v41, s2, -v67
	v_add_f32_e32 v69, v5, v69
	v_mov_b32_e32 v5, v70
	v_mul_f32_e32 v71, 0xbf7d64f0, v63
	v_add_f32_e32 v6, v6, v9
	v_add_f32_e32 v7, v7, v8
	v_fma_f32 v8, v46, s4, -v68
	v_fmac_f32_e32 v70, 0xbf7d64f0, v61
	v_add_f32_e32 v8, v7, v8
	v_add_f32_e32 v7, v6, v70
	v_fma_f32 v6, v62, s3, -v71
	v_mul_f32_e32 v65, 0xbf4178ce, v14
	v_add_f32_e32 v6, v8, v6
	v_mov_b32_e32 v8, v65
	v_mul_f32_e32 v66, 0x3f7d64f0, v15
	v_fmac_f32_e32 v8, 0xbf27a4f4, v32
	v_mov_b32_e32 v9, v66
	v_fmac_f32_e32 v10, 0xbf7d64f0, v14
	v_add_f32_e32 v8, v1, v8
	v_fmac_f32_e32 v9, 0xbe11bafb, v33
	v_mul_f32_e32 v67, 0xbf0a6770, v38
	v_add_f32_e32 v10, v1, v10
	v_fmac_f32_e32 v11, 0x3e903f40, v15
	v_fmac_f32_e32 v5, 0x3f7d64f0, v61
	v_add_f32_e32 v8, v8, v9
	v_mov_b32_e32 v9, v67
	v_add_f32_e32 v10, v10, v11
	v_fma_f32 v11, v34, s3, -v12
	v_add_f32_e32 v5, v4, v5
	v_mov_b32_e32 v4, v71
	v_fmac_f32_e32 v9, 0x3f575c64, v37
	v_mul_f32_e32 v68, 0xbe903f40, v40
	v_fmac_f32_e32 v42, 0x3f68dda4, v38
	v_add_f32_e32 v11, v0, v11
	v_fma_f32 v12, v35, s0, -v13
	v_fmac_f32_e32 v4, 0xbe11bafb, v62
	v_add_f32_e32 v8, v8, v9
	v_mov_b32_e32 v9, v68
	v_add_f32_e32 v10, v10, v42
	v_fmac_f32_e32 v43, 0xbf0a6770, v40
	v_add_f32_e32 v11, v11, v12
	v_fma_f32 v12, v41, s4, -v45
	v_add_f32_e32 v4, v69, v4
	v_fmac_f32_e32 v9, 0xbf75a155, v39
	v_mul_f32_e32 v69, 0xbf4178ce, v17
	v_add_f32_e32 v10, v10, v43
	v_add_f32_e32 v11, v11, v12
	v_fma_f32 v12, v46, s1, -v58
	v_fmac_f32_e32 v60, 0xbf4178ce, v61
	v_add_f32_e32 v8, v8, v9
	v_fma_f32 v9, v34, s2, -v69
	v_mul_f32_e32 v70, 0x3f7d64f0, v36
	v_add_f32_e32 v12, v11, v12
	v_add_f32_e32 v11, v10, v60
	v_fma_f32 v10, v62, s2, -v64
	v_mul_f32_e32 v42, 0xbf68dda4, v14
	v_add_f32_e32 v9, v0, v9
	v_fma_f32 v71, v35, s3, -v70
	v_add_f32_e32 v10, v12, v10
	v_mov_b32_e32 v12, v42
	v_mul_f32_e32 v43, 0xbf4178ce, v15
	v_add_f32_e32 v9, v9, v71
	v_mul_f32_e32 v71, 0xbf0a6770, v44
	v_fmac_f32_e32 v12, 0x3ed4b147, v32
	v_mov_b32_e32 v13, v43
	v_fma_f32 v72, v41, s1, -v71
	v_add_f32_e32 v12, v1, v12
	v_fmac_f32_e32 v13, 0xbf27a4f4, v33
	v_mul_f32_e32 v45, 0x3e903f40, v38
	v_add_f32_e32 v9, v9, v72
	v_mul_f32_e32 v72, 0xbe903f40, v57
	v_add_f32_e32 v12, v12, v13
	v_mov_b32_e32 v13, v45
	v_fma_f32 v73, v46, s0, -v72
	v_mul_f32_e32 v74, 0x3f68dda4, v61
	v_fmac_f32_e32 v13, 0xbf75a155, v37
	v_mul_f32_e32 v58, 0x3f7d64f0, v40
	v_add_f32_e32 v73, v9, v73
	v_mov_b32_e32 v9, v74
	v_add_f32_e32 v12, v12, v13
	v_mov_b32_e32 v13, v58
	v_fmac_f32_e32 v9, 0x3ed4b147, v59
	v_mul_f32_e32 v75, 0x3f68dda4, v63
	v_fmac_f32_e32 v13, 0xbe11bafb, v39
	v_mul_f32_e32 v60, 0xbf68dda4, v17
	v_add_f32_e32 v9, v8, v9
	v_fma_f32 v8, v62, s4, -v75
	v_add_f32_e32 v12, v12, v13
	v_fma_f32 v13, v34, s4, -v60
	v_mul_f32_e32 v64, 0xbf4178ce, v36
	v_add_f32_e32 v8, v73, v8
	v_add_f32_e32 v13, v0, v13
	v_fma_f32 v73, v35, s2, -v64
	v_add_f32_e32 v27, v0, v27
	v_add_f32_e32 v13, v13, v73
	v_mul_f32_e32 v73, 0x3e903f40, v44
	v_add_f32_e32 v27, v27, v28
	v_fma_f32 v76, v41, s0, -v73
	v_add_f32_e32 v27, v27, v29
	v_add_f32_e32 v13, v13, v76
	v_mul_f32_e32 v76, 0x3f7d64f0, v57
	v_add_f32_e32 v27, v27, v31
	v_fma_f32 v77, v46, s3, -v76
	v_mul_f32_e32 v78, 0x3f0a6770, v61
	v_add_f32_e32 v19, v27, v19
	v_add_f32_e32 v77, v13, v77
	v_mov_b32_e32 v13, v78
	v_add_f32_e32 v16, v16, v19
	v_fmac_f32_e32 v13, 0x3f575c64, v59
	v_mul_f32_e32 v79, 0x3f0a6770, v63
	v_add_f32_e32 v16, v18, v16
	v_fma_f32 v18, v32, s2, -v65
	v_add_f32_e32 v13, v12, v13
	v_fma_f32 v12, v62, s1, -v79
	;; [unrolled: 2-line block ×3, first 2 shown]
	v_add_f32_e32 v12, v77, v12
	v_mul_f32_e32 v77, 0xbf0a6770, v14
	v_add_f32_e32 v18, v18, v19
	v_fma_f32 v19, v37, s1, -v67
	v_mov_b32_e32 v14, v77
	v_mul_f32_e32 v80, 0xbf68dda4, v15
	v_add_f32_e32 v18, v18, v19
	v_fma_f32 v19, v39, s0, -v68
	v_fmac_f32_e32 v69, 0xbf27a4f4, v34
	v_fmac_f32_e32 v14, 0x3f575c64, v32
	v_mov_b32_e32 v15, v80
	v_add_f32_e32 v18, v18, v19
	v_add_f32_e32 v19, v0, v69
	v_fmac_f32_e32 v70, 0xbe11bafb, v35
	v_add_f32_e32 v14, v1, v14
	v_fmac_f32_e32 v15, 0x3ed4b147, v33
	v_mul_f32_e32 v38, 0xbf7d64f0, v38
	v_add_f32_e32 v16, v30, v16
	v_add_f32_e32 v19, v19, v70
	v_fmac_f32_e32 v71, 0x3f575c64, v41
	v_add_f32_e32 v14, v14, v15
	v_mov_b32_e32 v15, v38
	v_add_f32_e32 v16, v25, v16
	v_add_f32_e32 v19, v19, v71
	v_fmac_f32_e32 v72, 0xbf75a155, v46
	v_fmac_f32_e32 v15, 0xbe11bafb, v37
	v_mul_f32_e32 v40, 0xbf4178ce, v40
	v_add_f32_e32 v16, v24, v16
	v_add_f32_e32 v24, v19, v72
	v_fma_f32 v19, v59, s4, -v74
	v_fmac_f32_e32 v75, 0x3ed4b147, v62
	v_add_f32_e32 v14, v14, v15
	v_mov_b32_e32 v15, v40
	v_add_f32_e32 v19, v18, v19
	v_add_f32_e32 v18, v24, v75
	v_fma_f32 v24, v32, s4, -v42
	v_fmac_f32_e32 v15, 0xbf27a4f4, v39
	v_mul_f32_e32 v81, 0xbf0a6770, v17
	v_add_f32_e32 v24, v1, v24
	v_fma_f32 v25, v33, s2, -v43
	v_add_f32_e32 v14, v14, v15
	v_fma_f32 v15, v34, s1, -v81
	v_mul_f32_e32 v36, 0xbf68dda4, v36
	v_add_f32_e32 v24, v24, v25
	v_fma_f32 v25, v37, s0, -v45
	v_add_f32_e32 v15, v0, v15
	v_fma_f32 v17, v35, s4, -v36
	v_mul_f32_e32 v44, 0xbf7d64f0, v44
	v_add_f32_e32 v24, v24, v25
	v_fma_f32 v25, v39, s3, -v58
	v_fmac_f32_e32 v60, 0x3ed4b147, v34
	v_add_f32_e32 v15, v15, v17
	v_fma_f32 v17, v41, s3, -v44
	v_mul_f32_e32 v57, 0xbf4178ce, v57
	v_add_f32_e32 v24, v24, v25
	v_add_f32_e32 v25, v0, v60
	v_fmac_f32_e32 v64, 0xbf27a4f4, v35
	v_add_f32_e32 v15, v15, v17
	v_fma_f32 v17, v46, s2, -v57
	v_mul_f32_e32 v61, 0xbe903f40, v61
	v_add_f32_e32 v25, v25, v64
	v_fmac_f32_e32 v73, 0xbf75a155, v41
	v_add_f32_e32 v17, v15, v17
	v_mov_b32_e32 v15, v61
	v_add_f32_e32 v25, v25, v73
	v_fmac_f32_e32 v76, 0xbe11bafb, v46
	v_fmac_f32_e32 v15, 0xbf75a155, v59
	v_mul_f32_e32 v63, 0xbe903f40, v63
	v_add_f32_e32 v27, v25, v76
	v_fma_f32 v25, v59, s1, -v78
	v_fmac_f32_e32 v79, 0x3f575c64, v62
	v_add_f32_e32 v15, v14, v15
	v_fma_f32 v14, v62, s0, -v63
	v_add_f32_e32 v25, v24, v25
	v_add_f32_e32 v24, v27, v79
	v_fma_f32 v27, v32, s1, -v77
	v_add_f32_e32 v14, v17, v14
	;; [unrolled: 3-line block ×4, first 2 shown]
	v_fma_f32 v27, v39, s2, -v40
	v_add_f32_e32 v1, v1, v27
	v_fma_f32 v27, v59, s0, -v61
	v_add_f32_e32 v1, v1, v27
	v_mad_u64_u32 v[27:28], s[0:1], s20, v26, 0
	v_fmac_f32_e32 v81, 0x3f575c64, v34
	v_add_f32_e32 v0, v0, v81
	v_fmac_f32_e32 v36, 0x3ed4b147, v35
	v_add_f32_e32 v0, v0, v36
	;; [unrolled: 2-line block ×3, first 2 shown]
	v_mov_b32_e32 v0, v28
	v_mad_u64_u32 v[28:29], s[0:1], s21, v26, v[0:1]
	v_mov_b32_e32 v29, s11
	v_fmac_f32_e32 v57, 0xbf27a4f4, v46
	v_addc_co_u32_e32 v23, vcc, v29, v23, vcc
	v_add_f32_e32 v0, v30, v57
	v_add_co_u32_e32 v30, vcc, v22, v20
	v_addc_co_u32_e32 v31, vcc, v23, v21, vcc
	v_lshlrev_b64 v[20:21], 3, v[27:28]
	v_add_u32_e32 v27, 0x5a, v26
	v_add_f32_e32 v17, v17, v48
	v_mad_u64_u32 v[22:23], s[0:1], s20, v27, 0
	v_add_f32_e32 v17, v17, v51
	v_add_f32_e32 v17, v17, v54
	;; [unrolled: 1-line block ×4, first 2 shown]
	v_mad_u64_u32 v[27:28], s[0:1], s21, v27, v[23:24]
	v_add_u32_e32 v32, 0xb4, v26
	v_add_f32_e32 v17, v53, v17
	v_mad_u64_u32 v[28:29], s[0:1], s20, v32, 0
	v_add_f32_e32 v17, v52, v17
	v_add_f32_e32 v17, v50, v17
	v_add_co_u32_e32 v20, vcc, v30, v20
	v_add_f32_e32 v17, v49, v17
	v_addc_co_u32_e32 v21, vcc, v31, v21, vcc
	global_store_dwordx2 v[20:21], v[16:17], off
	v_mov_b32_e32 v20, v29
	v_mov_b32_e32 v23, v27
	v_mad_u64_u32 v[20:21], s[0:1], s21, v32, v[20:21]
	v_lshlrev_b64 v[16:17], 3, v[22:23]
	v_add_u32_e32 v23, 0x168, v26
	v_add_co_u32_e32 v16, vcc, v30, v16
	v_addc_co_u32_e32 v17, vcc, v31, v17, vcc
	v_mov_b32_e32 v29, v20
	v_add_u32_e32 v20, 0x10e, v26
	global_store_dwordx2 v[16:17], v[14:15], off
	v_mad_u64_u32 v[16:17], s[0:1], s20, v20, 0
	v_lshlrev_b64 v[14:15], 3, v[28:29]
	v_fmac_f32_e32 v63, 0xbf75a155, v62
	v_mad_u64_u32 v[20:21], s[0:1], s21, v20, v[17:18]
	v_mad_u64_u32 v[21:22], s[0:1], s20, v23, 0
	v_add_co_u32_e32 v14, vcc, v30, v14
	v_addc_co_u32_e32 v15, vcc, v31, v15, vcc
	global_store_dwordx2 v[14:15], v[12:13], off
	v_mov_b32_e32 v14, v22
	v_mov_b32_e32 v17, v20
	v_mad_u64_u32 v[14:15], s[0:1], s21, v23, v[14:15]
	v_lshlrev_b64 v[12:13], 3, v[16:17]
	v_add_u32_e32 v16, 0x21c, v26
	v_add_co_u32_e32 v12, vcc, v30, v12
	v_addc_co_u32_e32 v13, vcc, v31, v13, vcc
	v_mov_b32_e32 v22, v14
	v_add_u32_e32 v14, 0x1c2, v26
	global_store_dwordx2 v[12:13], v[10:11], off
	v_mad_u64_u32 v[12:13], s[0:1], s20, v14, 0
	v_lshlrev_b64 v[10:11], 3, v[21:22]
	v_add_f32_e32 v0, v0, v63
	v_mad_u64_u32 v[13:14], s[0:1], s21, v14, v[13:14]
	v_mad_u64_u32 v[14:15], s[0:1], s20, v16, 0
	v_add_co_u32_e32 v10, vcc, v30, v10
	v_addc_co_u32_e32 v11, vcc, v31, v11, vcc
	global_store_dwordx2 v[10:11], v[8:9], off
	v_mov_b32_e32 v10, v15
	v_mad_u64_u32 v[10:11], s[0:1], s21, v16, v[10:11]
	v_lshlrev_b64 v[8:9], 3, v[12:13]
	v_add_u32_e32 v12, 0x2d0, v26
	v_add_co_u32_e32 v8, vcc, v30, v8
	v_addc_co_u32_e32 v9, vcc, v31, v9, vcc
	v_mov_b32_e32 v15, v10
	v_add_u32_e32 v10, 0x276, v26
	global_store_dwordx2 v[8:9], v[6:7], off
	v_mad_u64_u32 v[8:9], s[0:1], s20, v10, 0
	v_lshlrev_b64 v[6:7], 3, v[14:15]
	v_mad_u64_u32 v[9:10], s[0:1], s21, v10, v[9:10]
	v_mad_u64_u32 v[10:11], s[0:1], s20, v12, 0
	v_add_co_u32_e32 v6, vcc, v30, v6
	v_addc_co_u32_e32 v7, vcc, v31, v7, vcc
	global_store_dwordx2 v[6:7], v[4:5], off
	v_mov_b32_e32 v6, v11
	v_mad_u64_u32 v[6:7], s[0:1], s21, v12, v[6:7]
	v_lshlrev_b64 v[4:5], 3, v[8:9]
	v_add_u32_e32 v8, 0x32a, v26
	v_mov_b32_e32 v11, v6
	v_mad_u64_u32 v[6:7], s[0:1], s20, v8, 0
	v_add_co_u32_e32 v4, vcc, v30, v4
	v_addc_co_u32_e32 v5, vcc, v31, v5, vcc
	global_store_dwordx2 v[4:5], v[18:19], off
	v_lshlrev_b64 v[4:5], 3, v[10:11]
	v_mad_u64_u32 v[7:8], s[0:1], s21, v8, v[7:8]
	v_add_u32_e32 v10, 0x384, v26
	v_mad_u64_u32 v[8:9], s[0:1], s20, v10, 0
	v_add_co_u32_e32 v4, vcc, v30, v4
	v_addc_co_u32_e32 v5, vcc, v31, v5, vcc
	global_store_dwordx2 v[4:5], v[2:3], off
	v_mov_b32_e32 v4, v9
	v_mad_u64_u32 v[4:5], s[0:1], s21, v10, v[4:5]
	v_lshlrev_b64 v[2:3], 3, v[6:7]
	v_add_co_u32_e32 v2, vcc, v30, v2
	v_addc_co_u32_e32 v3, vcc, v31, v3, vcc
	v_mov_b32_e32 v9, v4
	global_store_dwordx2 v[2:3], v[24:25], off
	v_lshlrev_b64 v[2:3], 3, v[8:9]
	v_add_co_u32_e32 v2, vcc, v30, v2
	v_addc_co_u32_e32 v3, vcc, v31, v3, vcc
	global_store_dwordx2 v[2:3], v[0:1], off
.LBB0_25:
	s_endpgm
	.section	.rodata,"a",@progbits
	.p2align	6, 0x0
	.amdhsa_kernel fft_rtc_fwd_len990_factors_2_3_3_5_11_wgs_110_tpt_110_sp_op_CI_CI_sbrr_dirReg
		.amdhsa_group_segment_fixed_size 0
		.amdhsa_private_segment_fixed_size 0
		.amdhsa_kernarg_size 104
		.amdhsa_user_sgpr_count 6
		.amdhsa_user_sgpr_private_segment_buffer 1
		.amdhsa_user_sgpr_dispatch_ptr 0
		.amdhsa_user_sgpr_queue_ptr 0
		.amdhsa_user_sgpr_kernarg_segment_ptr 1
		.amdhsa_user_sgpr_dispatch_id 0
		.amdhsa_user_sgpr_flat_scratch_init 0
		.amdhsa_user_sgpr_private_segment_size 0
		.amdhsa_uses_dynamic_stack 0
		.amdhsa_system_sgpr_private_segment_wavefront_offset 0
		.amdhsa_system_sgpr_workgroup_id_x 1
		.amdhsa_system_sgpr_workgroup_id_y 0
		.amdhsa_system_sgpr_workgroup_id_z 0
		.amdhsa_system_sgpr_workgroup_info 0
		.amdhsa_system_vgpr_workitem_id 0
		.amdhsa_next_free_vgpr 82
		.amdhsa_next_free_sgpr 32
		.amdhsa_reserve_vcc 1
		.amdhsa_reserve_flat_scratch 0
		.amdhsa_float_round_mode_32 0
		.amdhsa_float_round_mode_16_64 0
		.amdhsa_float_denorm_mode_32 3
		.amdhsa_float_denorm_mode_16_64 3
		.amdhsa_dx10_clamp 1
		.amdhsa_ieee_mode 1
		.amdhsa_fp16_overflow 0
		.amdhsa_exception_fp_ieee_invalid_op 0
		.amdhsa_exception_fp_denorm_src 0
		.amdhsa_exception_fp_ieee_div_zero 0
		.amdhsa_exception_fp_ieee_overflow 0
		.amdhsa_exception_fp_ieee_underflow 0
		.amdhsa_exception_fp_ieee_inexact 0
		.amdhsa_exception_int_div_zero 0
	.end_amdhsa_kernel
	.text
.Lfunc_end0:
	.size	fft_rtc_fwd_len990_factors_2_3_3_5_11_wgs_110_tpt_110_sp_op_CI_CI_sbrr_dirReg, .Lfunc_end0-fft_rtc_fwd_len990_factors_2_3_3_5_11_wgs_110_tpt_110_sp_op_CI_CI_sbrr_dirReg
                                        ; -- End function
	.section	.AMDGPU.csdata,"",@progbits
; Kernel info:
; codeLenInByte = 7776
; NumSgprs: 36
; NumVgprs: 82
; ScratchSize: 0
; MemoryBound: 0
; FloatMode: 240
; IeeeMode: 1
; LDSByteSize: 0 bytes/workgroup (compile time only)
; SGPRBlocks: 4
; VGPRBlocks: 20
; NumSGPRsForWavesPerEU: 36
; NumVGPRsForWavesPerEU: 82
; Occupancy: 3
; WaveLimiterHint : 1
; COMPUTE_PGM_RSRC2:SCRATCH_EN: 0
; COMPUTE_PGM_RSRC2:USER_SGPR: 6
; COMPUTE_PGM_RSRC2:TRAP_HANDLER: 0
; COMPUTE_PGM_RSRC2:TGID_X_EN: 1
; COMPUTE_PGM_RSRC2:TGID_Y_EN: 0
; COMPUTE_PGM_RSRC2:TGID_Z_EN: 0
; COMPUTE_PGM_RSRC2:TIDIG_COMP_CNT: 0
	.type	__hip_cuid_d241a3f82a50c0da,@object ; @__hip_cuid_d241a3f82a50c0da
	.section	.bss,"aw",@nobits
	.globl	__hip_cuid_d241a3f82a50c0da
__hip_cuid_d241a3f82a50c0da:
	.byte	0                               ; 0x0
	.size	__hip_cuid_d241a3f82a50c0da, 1

	.ident	"AMD clang version 19.0.0git (https://github.com/RadeonOpenCompute/llvm-project roc-6.4.0 25133 c7fe45cf4b819c5991fe208aaa96edf142730f1d)"
	.section	".note.GNU-stack","",@progbits
	.addrsig
	.addrsig_sym __hip_cuid_d241a3f82a50c0da
	.amdgpu_metadata
---
amdhsa.kernels:
  - .args:
      - .actual_access:  read_only
        .address_space:  global
        .offset:         0
        .size:           8
        .value_kind:     global_buffer
      - .offset:         8
        .size:           8
        .value_kind:     by_value
      - .actual_access:  read_only
        .address_space:  global
        .offset:         16
        .size:           8
        .value_kind:     global_buffer
      - .actual_access:  read_only
        .address_space:  global
        .offset:         24
        .size:           8
        .value_kind:     global_buffer
      - .actual_access:  read_only
        .address_space:  global
        .offset:         32
        .size:           8
        .value_kind:     global_buffer
      - .offset:         40
        .size:           8
        .value_kind:     by_value
      - .actual_access:  read_only
        .address_space:  global
        .offset:         48
        .size:           8
        .value_kind:     global_buffer
      - .actual_access:  read_only
        .address_space:  global
        .offset:         56
        .size:           8
        .value_kind:     global_buffer
      - .offset:         64
        .size:           4
        .value_kind:     by_value
      - .actual_access:  read_only
        .address_space:  global
        .offset:         72
        .size:           8
        .value_kind:     global_buffer
      - .actual_access:  read_only
        .address_space:  global
        .offset:         80
        .size:           8
        .value_kind:     global_buffer
      - .actual_access:  read_only
        .address_space:  global
        .offset:         88
        .size:           8
        .value_kind:     global_buffer
      - .actual_access:  write_only
        .address_space:  global
        .offset:         96
        .size:           8
        .value_kind:     global_buffer
    .group_segment_fixed_size: 0
    .kernarg_segment_align: 8
    .kernarg_segment_size: 104
    .language:       OpenCL C
    .language_version:
      - 2
      - 0
    .max_flat_workgroup_size: 110
    .name:           fft_rtc_fwd_len990_factors_2_3_3_5_11_wgs_110_tpt_110_sp_op_CI_CI_sbrr_dirReg
    .private_segment_fixed_size: 0
    .sgpr_count:     36
    .sgpr_spill_count: 0
    .symbol:         fft_rtc_fwd_len990_factors_2_3_3_5_11_wgs_110_tpt_110_sp_op_CI_CI_sbrr_dirReg.kd
    .uniform_work_group_size: 1
    .uses_dynamic_stack: false
    .vgpr_count:     82
    .vgpr_spill_count: 0
    .wavefront_size: 64
amdhsa.target:   amdgcn-amd-amdhsa--gfx906
amdhsa.version:
  - 1
  - 2
...

	.end_amdgpu_metadata
